;; amdgpu-corpus repo=ROCm/rocFFT kind=compiled arch=gfx906 opt=O3
	.text
	.amdgcn_target "amdgcn-amd-amdhsa--gfx906"
	.amdhsa_code_object_version 6
	.protected	bluestein_single_fwd_len70_dim1_half_op_CI_CI ; -- Begin function bluestein_single_fwd_len70_dim1_half_op_CI_CI
	.globl	bluestein_single_fwd_len70_dim1_half_op_CI_CI
	.p2align	8
	.type	bluestein_single_fwd_len70_dim1_half_op_CI_CI,@function
bluestein_single_fwd_len70_dim1_half_op_CI_CI: ; @bluestein_single_fwd_len70_dim1_half_op_CI_CI
; %bb.0:
	v_mul_u32_u24_e32 v1, 0x124a, v0
	s_load_dwordx4 s[12:15], s[4:5], 0x28
	v_lshrrev_b32_e32 v1, 16, v1
	v_mad_u64_u32 v[10:11], s[0:1], s6, 18, v[1:2]
	v_mov_b32_e32 v11, 0
	s_waitcnt lgkmcnt(0)
	v_cmp_gt_u64_e32 vcc, s[12:13], v[10:11]
	s_and_saveexec_b64 s[0:1], vcc
	s_cbranch_execz .LBB0_23
; %bb.1:
	s_load_dwordx4 s[0:3], s[4:5], 0x18
	s_load_dwordx2 s[12:13], s[4:5], 0x0
	v_mul_lo_u16_e32 v1, 14, v1
	v_sub_u16_e32 v23, v0, v1
	v_lshlrev_b32_e32 v26, 2, v23
	s_waitcnt lgkmcnt(0)
	s_load_dwordx4 s[8:11], s[0:1], 0x0
	global_load_dword v24, v26, s[12:13]
	s_mov_b32 s6, 0x38e38e39
	v_mov_b32_e32 v7, s13
	s_waitcnt lgkmcnt(0)
	v_mad_u64_u32 v[0:1], s[0:1], s10, v10, 0
	v_mad_u64_u32 v[2:3], s[0:1], s8, v23, 0
	v_mad_u64_u32 v[4:5], s[0:1], s11, v10, v[1:2]
	v_mad_u64_u32 v[5:6], s[0:1], s9, v23, v[3:4]
	v_mov_b32_e32 v1, v4
	v_lshlrev_b64 v[0:1], 2, v[0:1]
	v_mov_b32_e32 v6, s15
	v_mov_b32_e32 v3, v5
	v_add_co_u32_e32 v4, vcc, s14, v0
	v_addc_co_u32_e32 v5, vcc, v6, v1, vcc
	v_lshlrev_b64 v[0:1], 2, v[2:3]
	s_mul_i32 s0, s9, 35
	s_mul_hi_u32 s1, s8, 35
	s_add_i32 s1, s1, s0
	s_mul_i32 s0, s8, 35
	v_add_co_u32_e32 v0, vcc, v4, v0
	s_lshl_b64 s[14:15], s[0:1], 2
	s_mul_hi_u32 s1, s8, 0xffffffeb
	v_addc_co_u32_e32 v1, vcc, v5, v1, vcc
	s_mul_i32 s0, s9, 0xffffffeb
	s_sub_i32 s1, s1, s8
	global_load_dword v2, v[0:1], off
	v_mov_b32_e32 v3, s15
	v_add_co_u32_e32 v0, vcc, s14, v0
	s_add_i32 s1, s1, s0
	s_mul_i32 s0, s8, 0xffffffeb
	v_addc_co_u32_e32 v1, vcc, v1, v3, vcc
	s_lshl_b64 s[0:1], s[0:1], 2
	global_load_dword v4, v[0:1], off
	global_load_dword v22, v26, s[12:13] offset:140
	v_mov_b32_e32 v5, s1
	v_add_co_u32_e32 v0, vcc, s0, v0
	v_addc_co_u32_e32 v1, vcc, v1, v5, vcc
	global_load_dword v5, v[0:1], off
	global_load_dword v20, v26, s[12:13] offset:196
	global_load_dword v21, v26, s[12:13] offset:56
	v_add_co_u32_e32 v0, vcc, s14, v0
	v_addc_co_u32_e32 v1, vcc, v1, v3, vcc
	global_load_dword v3, v[0:1], off
	v_mul_hi_u32 v6, v10, s6
	v_add_co_u32_e32 v8, vcc, s12, v26
	v_addc_co_u32_e32 v9, vcc, 0, v7, vcc
	v_lshrrev_b32_e32 v6, 2, v6
	v_mul_lo_u32 v6, v6, 18
	s_load_dwordx2 s[6:7], s[4:5], 0x38
	s_load_dwordx4 s[8:11], s[2:3], 0x0
	v_cmp_gt_u16_e32 vcc, 7, v23
	v_sub_u32_e32 v6, v10, v6
	v_mul_u32_u24_e32 v6, 0x46, v6
	v_lshlrev_b32_e32 v25, 2, v6
	v_add_u32_e32 v19, v26, v25
	s_waitcnt vmcnt(6)
	v_lshrrev_b32_e32 v6, 16, v2
	v_mul_f16_sdwa v7, v24, v2 dst_sel:DWORD dst_unused:UNUSED_PAD src0_sel:WORD_1 src1_sel:DWORD
	v_fma_f16 v7, v24, v6, -v7
	v_mul_f16_sdwa v6, v24, v6 dst_sel:DWORD dst_unused:UNUSED_PAD src0_sel:WORD_1 src1_sel:DWORD
	v_fma_f16 v2, v24, v2, v6
	v_pack_b32_f16 v2, v2, v7
	s_waitcnt vmcnt(5)
	v_lshrrev_b32_e32 v11, 16, v4
	s_waitcnt vmcnt(4)
	v_mul_f16_sdwa v12, v22, v4 dst_sel:DWORD dst_unused:UNUSED_PAD src0_sel:WORD_1 src1_sel:DWORD
	v_fma_f16 v6, v22, v11, -v12
	v_mul_f16_sdwa v11, v22, v11 dst_sel:DWORD dst_unused:UNUSED_PAD src0_sel:WORD_1 src1_sel:DWORD
	v_fma_f16 v4, v22, v4, v11
	s_waitcnt vmcnt(3)
	v_lshrrev_b32_e32 v12, 16, v5
	v_pack_b32_f16 v4, v4, v6
	s_waitcnt vmcnt(1)
	v_mul_f16_sdwa v13, v21, v5 dst_sel:DWORD dst_unused:UNUSED_PAD src0_sel:WORD_1 src1_sel:DWORD
	v_fma_f16 v7, v21, v12, -v13
	v_mul_f16_sdwa v11, v21, v12 dst_sel:DWORD dst_unused:UNUSED_PAD src0_sel:WORD_1 src1_sel:DWORD
	v_fma_f16 v5, v21, v5, v11
	ds_write_b32 v19, v4 offset:140
	s_waitcnt vmcnt(0)
	v_lshrrev_b32_e32 v12, 16, v3
	v_mul_f16_sdwa v13, v20, v3 dst_sel:DWORD dst_unused:UNUSED_PAD src0_sel:WORD_1 src1_sel:DWORD
	v_mul_f16_sdwa v11, v20, v12 dst_sel:DWORD dst_unused:UNUSED_PAD src0_sel:WORD_1 src1_sel:DWORD
	v_fma_f16 v6, v20, v12, -v13
	v_pack_b32_f16 v4, v5, v7
	v_fma_f16 v3, v20, v3, v11
	ds_write2_b32 v19, v2, v4 offset1:14
	v_pack_b32_f16 v2, v3, v6
	ds_write_b32 v19, v2 offset:196
	s_and_saveexec_b64 s[2:3], vcc
	s_cbranch_execz .LBB0_3
; %bb.2:
	v_mov_b32_e32 v2, s1
	v_add_co_u32_e64 v0, s[0:1], s0, v0
	v_addc_co_u32_e64 v1, s[0:1], v1, v2, s[0:1]
	global_load_dword v2, v[0:1], off
	global_load_dword v3, v[8:9], off offset:112
	v_mov_b32_e32 v4, s15
	v_add_co_u32_e64 v0, s[0:1], s14, v0
	v_addc_co_u32_e64 v1, s[0:1], v1, v4, s[0:1]
	global_load_dword v4, v[0:1], off
	global_load_dword v5, v[8:9], off offset:252
	s_waitcnt vmcnt(3)
	v_lshrrev_b32_e32 v0, 16, v2
	s_waitcnt vmcnt(2)
	v_mul_f16_sdwa v1, v3, v2 dst_sel:DWORD dst_unused:UNUSED_PAD src0_sel:WORD_1 src1_sel:DWORD
	v_mul_f16_sdwa v6, v3, v0 dst_sel:DWORD dst_unused:UNUSED_PAD src0_sel:WORD_1 src1_sel:DWORD
	v_fma_f16 v0, v3, v0, -v1
	v_fma_f16 v2, v3, v2, v6
	v_pack_b32_f16 v0, v2, v0
	s_waitcnt vmcnt(1)
	v_lshrrev_b32_e32 v1, 16, v4
	s_waitcnt vmcnt(0)
	v_mul_f16_sdwa v7, v5, v4 dst_sel:DWORD dst_unused:UNUSED_PAD src0_sel:WORD_1 src1_sel:DWORD
	v_mul_f16_sdwa v3, v5, v1 dst_sel:DWORD dst_unused:UNUSED_PAD src0_sel:WORD_1 src1_sel:DWORD
	v_fma_f16 v2, v5, v4, v3
	v_fma_f16 v1, v5, v1, -v7
	v_pack_b32_f16 v1, v2, v1
	ds_write2_b32 v19, v0, v1 offset0:28 offset1:63
.LBB0_3:
	s_or_b64 exec, exec, s[2:3]
	s_load_dwordx2 s[2:3], s[4:5], 0x8
	s_waitcnt lgkmcnt(0)
	s_barrier
	ds_read2_b32 v[2:3], v19 offset1:14
	ds_read2_b32 v[4:5], v19 offset0:35 offset1:49
                                        ; implicit-def: $vgpr0
	s_and_saveexec_b64 s[0:1], vcc
	s_cbranch_execz .LBB0_5
; %bb.4:
	ds_read2_b32 v[0:1], v19 offset0:28 offset1:63
.LBB0_5:
	s_or_b64 exec, exec, s[0:1]
	v_add_co_u32_e64 v7, s[0:1], 28, v23
	s_waitcnt lgkmcnt(0)
	v_pk_add_f16 v6, v2, v4 neg_lo:[0,1] neg_hi:[0,1]
	v_pk_add_f16 v4, v3, v5 neg_lo:[0,1] neg_hi:[0,1]
	;; [unrolled: 1-line block ×3, first 2 shown]
	v_lshlrev_b16_e32 v1, 1, v23
	v_lshl_add_u32 v28, v1, 2, v25
	v_pk_fma_f16 v5, v2, 2.0, v6 op_sel_hi:[1,0,1] neg_lo:[0,0,1] neg_hi:[0,0,1]
	v_lshl_add_u32 v29, v23, 3, v25
	v_pk_fma_f16 v3, v3, 2.0, v4 op_sel_hi:[1,0,1] neg_lo:[0,0,1] neg_hi:[0,0,1]
	v_lshl_add_u32 v27, v7, 3, v25
	s_barrier
	ds_write_b64 v28, v[5:6]
	ds_write_b64 v29, v[3:4] offset:112
	s_and_saveexec_b64 s[0:1], vcc
	s_cbranch_execz .LBB0_7
; %bb.6:
	v_pk_fma_f16 v13, v0, 2.0, v14 op_sel_hi:[1,0,1] neg_lo:[0,0,1] neg_hi:[0,0,1]
	ds_write_b64 v27, v[13:14]
.LBB0_7:
	s_or_b64 exec, exec, s[0:1]
	v_and_b32_e32 v11, 1, v23
	v_lshlrev_b32_e32 v0, 4, v11
	s_waitcnt lgkmcnt(0)
	s_barrier
	global_load_dwordx4 v[0:3], v0, s[2:3]
	ds_read2_b32 v[4:5], v19 offset0:28 offset1:42
	ds_read2_b32 v[6:7], v19 offset1:14
	ds_read_b32 v12, v19 offset:224
	v_lshrrev_b32_e32 v13, 1, v23
	v_mul_u32_u24_e32 v13, 10, v13
	v_or_b32_e32 v11, v13, v11
	v_lshl_add_u32 v30, v11, 2, v25
	s_waitcnt lgkmcnt(2)
	v_lshrrev_b32_e32 v11, 16, v4
	v_lshrrev_b32_e32 v13, 16, v5
	s_waitcnt lgkmcnt(1)
	v_lshrrev_b32_e32 v15, 16, v7
	s_waitcnt lgkmcnt(0)
	v_lshrrev_b32_e32 v16, 16, v12
	v_lshrrev_b32_e32 v17, 16, v6
	s_movk_i32 s0, 0x3b9c
	s_mov_b32 s5, 0xbb9c
	s_movk_i32 s1, 0x38b4
	s_mov_b32 s14, 0xb8b4
	s_movk_i32 s4, 0x34f2
	s_waitcnt vmcnt(0)
	s_barrier
	v_mul_f16_sdwa v18, v11, v1 dst_sel:DWORD dst_unused:UNUSED_PAD src0_sel:DWORD src1_sel:WORD_1
	v_mul_f16_sdwa v31, v4, v1 dst_sel:DWORD dst_unused:UNUSED_PAD src0_sel:DWORD src1_sel:WORD_1
	;; [unrolled: 1-line block ×8, first 2 shown]
	v_fma_f16 v4, v4, v1, -v18
	v_fma_f16 v5, v5, v2, -v32
	v_fma_f16 v11, v11, v1, v31
	v_fma_f16 v13, v13, v2, v33
	v_fma_f16 v12, v12, v3, -v34
	v_fma_f16 v15, v15, v0, v36
	v_fma_f16 v7, v7, v0, -v37
	v_fma_f16 v16, v16, v3, v35
	v_sub_f16_e32 v18, v4, v7
	v_sub_f16_e32 v31, v5, v12
	v_add_f16_e32 v32, v7, v12
	v_add_f16_e32 v35, v4, v5
	;; [unrolled: 1-line block ×5, first 2 shown]
	v_sub_f16_e32 v33, v11, v13
	v_sub_f16_e32 v34, v15, v16
	;; [unrolled: 1-line block ×8, first 2 shown]
	v_add_f16_e32 v15, v15, v16
	v_add_f16_e32 v18, v18, v31
	v_fma_f16 v31, v32, -0.5, v6
	v_fma_f16 v6, v35, -0.5, v6
	v_add_f16_e32 v4, v36, v4
	v_add_f16_e32 v11, v42, v11
	v_fma_f16 v36, v43, -0.5, v17
	v_sub_f16_e32 v41, v16, v13
	v_add_f16_e32 v32, v37, v38
	v_fma_f16 v37, v15, -0.5, v17
	v_fma_f16 v15, v33, s5, v31
	v_fma_f16 v17, v33, s0, v31
	;; [unrolled: 1-line block ×4, first 2 shown]
	v_add_f16_e32 v4, v4, v5
	v_add_f16_e32 v5, v11, v13
	v_fma_f16 v11, v7, s5, v36
	v_sub_f16_e32 v45, v13, v16
	v_add_f16_e32 v35, v40, v41
	v_fma_f16 v13, v34, s1, v15
	v_fma_f16 v38, v33, s1, v31
	;; [unrolled: 1-line block ×3, first 2 shown]
	v_add_f16_e32 v15, v4, v12
	v_fma_f16 v4, v39, s14, v11
	v_fma_f16 v34, v34, s14, v17
	v_add_f16_e32 v31, v5, v16
	v_fma_f16 v17, v18, s4, v13
	v_fma_f16 v13, v32, s4, v6
	;; [unrolled: 1-line block ×4, first 2 shown]
	v_pack_b32_f16 v4, v15, v31
	v_pack_b32_f16 v5, v16, v32
	ds_write2_b32 v30, v4, v5 offset1:2
	v_fma_f16 v5, v39, s0, v37
	v_add_f16_e32 v4, v44, v45
	v_fma_f16 v5, v7, s14, v5
	v_fma_f16 v33, v4, s4, v5
	v_fma_f16 v5, v39, s5, v37
	v_fma_f16 v5, v7, s1, v5
	v_fma_f16 v18, v18, s4, v34
	v_fma_f16 v34, v4, s4, v5
	v_pack_b32_f16 v4, v17, v33
	v_pack_b32_f16 v5, v18, v34
	ds_write2_b32 v30, v4, v5 offset0:4 offset1:6
	v_fma_f16 v4, v7, s0, v36
	v_fma_f16 v4, v39, s1, v4
	;; [unrolled: 1-line block ×3, first 2 shown]
	v_pack_b32_f16 v4, v13, v36
	v_cmp_gt_u16_e64 s[0:1], 10, v23
	ds_write_b32 v30, v4 offset:32
	s_waitcnt lgkmcnt(0)
	s_barrier
	s_waitcnt lgkmcnt(0)
                                        ; implicit-def: $vgpr35
                                        ; implicit-def: $vgpr37
	s_and_saveexec_b64 s[4:5], s[0:1]
	s_cbranch_execz .LBB0_9
; %bb.8:
	ds_read2_b32 v[15:16], v19 offset1:10
	ds_read2_b32 v[17:18], v19 offset0:20 offset1:30
	ds_read2_b32 v[13:14], v19 offset0:40 offset1:50
	ds_read_b32 v35, v19 offset:240
	s_waitcnt lgkmcnt(3)
	v_lshrrev_b32_e32 v31, 16, v15
	v_lshrrev_b32_e32 v32, 16, v16
	s_waitcnt lgkmcnt(2)
	v_lshrrev_b32_e32 v33, 16, v17
	v_lshrrev_b32_e32 v34, 16, v18
	s_waitcnt lgkmcnt(1)
	v_lshrrev_b32_e32 v36, 16, v13
	s_waitcnt lgkmcnt(0)
	v_lshrrev_b32_e32 v37, 16, v35
.LBB0_9:
	s_or_b64 exec, exec, s[4:5]
	v_add_u32_e32 v4, -10, v23
	v_cndmask_b32_e64 v4, v4, v23, s[0:1]
	v_mul_hi_i32_i24_e32 v5, 24, v4
	v_mul_i32_i24_e32 v4, 24, v4
	v_mov_b32_e32 v6, s3
	v_add_co_u32_e64 v38, s[2:3], s2, v4
	v_addc_co_u32_e64 v39, s[2:3], v6, v5, s[2:3]
	global_load_dwordx4 v[4:7], v[38:39], off offset:32
	global_load_dwordx2 v[11:12], v[38:39], off offset:48
	v_lshrrev_b32_e32 v38, 16, v14
	s_movk_i32 s2, 0x2b26
	s_movk_i32 s3, 0x3b00
	s_mov_b32 s4, 0xbcab
	s_movk_i32 s5, 0x39e0
	s_mov_b32 s14, 0xb9e0
	s_movk_i32 s15, 0x3574
	s_waitcnt vmcnt(1)
	v_mul_f16_sdwa v39, v32, v4 dst_sel:DWORD dst_unused:UNUSED_PAD src0_sel:DWORD src1_sel:WORD_1
	v_mul_f16_sdwa v40, v16, v4 dst_sel:DWORD dst_unused:UNUSED_PAD src0_sel:DWORD src1_sel:WORD_1
	;; [unrolled: 1-line block ×8, first 2 shown]
	s_waitcnt vmcnt(0)
	v_mul_f16_sdwa v47, v38, v11 dst_sel:DWORD dst_unused:UNUSED_PAD src0_sel:DWORD src1_sel:WORD_1
	v_mul_f16_sdwa v48, v14, v11 dst_sel:DWORD dst_unused:UNUSED_PAD src0_sel:DWORD src1_sel:WORD_1
	;; [unrolled: 1-line block ×4, first 2 shown]
	v_fma_f16 v16, v16, v4, -v39
	v_fma_f16 v32, v32, v4, v40
	v_fma_f16 v17, v17, v5, -v41
	v_fma_f16 v33, v33, v5, v42
	;; [unrolled: 2-line block ×6, first 2 shown]
	v_add_f16_e32 v39, v16, v35
	v_add_f16_e32 v40, v32, v37
	v_sub_f16_e32 v16, v16, v35
	v_sub_f16_e32 v32, v32, v37
	v_add_f16_e32 v35, v17, v14
	v_add_f16_e32 v37, v33, v38
	v_sub_f16_e32 v14, v17, v14
	v_sub_f16_e32 v17, v33, v38
	;; [unrolled: 4-line block ×4, first 2 shown]
	v_sub_f16_e32 v39, v39, v33
	v_sub_f16_e32 v40, v40, v38
	;; [unrolled: 1-line block ×4, first 2 shown]
	v_add_f16_e32 v43, v13, v14
	v_add_f16_e32 v44, v18, v17
	v_sub_f16_e32 v45, v13, v14
	v_sub_f16_e32 v46, v18, v17
	;; [unrolled: 1-line block ×4, first 2 shown]
	v_add_f16_e32 v33, v33, v34
	v_add_f16_e32 v34, v38, v36
	v_mul_f16_e32 v36, 0x3a52, v39
	v_mul_f16_e32 v38, 0x3a52, v40
	v_sub_f16_e32 v13, v16, v13
	v_sub_f16_e32 v18, v32, v18
	v_add_f16_e32 v43, v43, v16
	v_add_f16_e32 v32, v44, v32
	v_mul_f16_e32 v39, 0x2b26, v35
	v_mul_f16_e32 v40, 0x2b26, v37
	;; [unrolled: 1-line block ×6, first 2 shown]
	v_add_f16_e32 v15, v15, v33
	v_add_f16_e32 v16, v31, v34
	v_fma_f16 v31, v35, s2, v36
	v_fma_f16 v35, v37, s2, v38
	s_mov_b32 s2, 0xb574
	v_fma_f16 v37, v41, s5, -v39
	v_fma_f16 v39, v42, s5, -v40
	;; [unrolled: 1-line block ×4, first 2 shown]
	v_fma_f16 v33, v33, s4, v15
	v_fma_f16 v34, v34, s4, v16
	;; [unrolled: 1-line block ×4, first 2 shown]
	v_fma_f16 v14, v14, s3, -v44
	v_fma_f16 v42, v17, s3, -v45
	;; [unrolled: 1-line block ×4, first 2 shown]
	s_movk_i32 s2, 0x370e
	v_add_f16_e32 v17, v31, v33
	v_add_f16_e32 v18, v35, v34
	;; [unrolled: 1-line block ×6, first 2 shown]
	v_fma_f16 v39, v43, s2, v40
	v_fma_f16 v40, v32, s2, v41
	v_fma_f16 v41, v43, s2, v14
	v_fma_f16 v42, v32, s2, v42
	v_fma_f16 v43, v43, s2, v13
	v_fma_f16 v44, v32, s2, v44
	v_add_f16_e32 v13, v42, v35
	v_sub_f16_e32 v33, v37, v41
	v_sub_f16_e32 v14, v36, v44
	v_add_f16_e32 v34, v43, v38
	v_sub_f16_e32 v31, v17, v40
	v_add_f16_e32 v32, v39, v18
	s_and_saveexec_b64 s[2:3], s[0:1]
	s_cbranch_execz .LBB0_11
; %bb.10:
	s_mov_b32 s4, 0x5040100
	v_sub_f16_e32 v38, v38, v43
	v_add_f16_e32 v36, v44, v36
	v_sub_f16_e32 v18, v18, v39
	v_add_f16_e32 v17, v40, v17
	v_perm_b32 v15, v16, v15, s4
	v_add_f16_e32 v37, v41, v37
	v_sub_f16_e32 v35, v35, v42
	ds_write_b32 v19, v15
	v_lshl_add_u32 v15, v23, 2, v25
	v_pack_b32_f16 v16, v17, v18
	v_pack_b32_f16 v17, v36, v38
	ds_write2_b32 v15, v16, v17 offset0:10 offset1:20
	v_pack_b32_f16 v16, v35, v37
	v_perm_b32 v17, v33, v13, s4
	ds_write2_b32 v15, v16, v17 offset0:30 offset1:40
	v_perm_b32 v16, v34, v14, s4
	v_perm_b32 v17, v32, v31, s4
	ds_write2_b32 v15, v16, v17 offset0:50 offset1:60
.LBB0_11:
	s_or_b64 exec, exec, s[2:3]
	s_waitcnt lgkmcnt(0)
	s_barrier
	global_load_dword v35, v[8:9], off offset:280
	s_add_u32 s2, s12, 0x118
	s_addc_u32 s3, s13, 0
	global_load_dword v36, v26, s[2:3] offset:140
	global_load_dword v37, v26, s[2:3] offset:196
	;; [unrolled: 1-line block ×3, first 2 shown]
	ds_read2_b32 v[15:16], v19 offset1:14
	ds_read2_b32 v[17:18], v19 offset0:35 offset1:49
	s_waitcnt lgkmcnt(1)
	v_lshrrev_b32_e32 v39, 16, v15
	s_waitcnt lgkmcnt(0)
	v_lshrrev_b32_e32 v40, 16, v17
	v_lshrrev_b32_e32 v41, 16, v16
	;; [unrolled: 1-line block ×3, first 2 shown]
	s_waitcnt vmcnt(3)
	v_mul_f16_sdwa v43, v39, v35 dst_sel:DWORD dst_unused:UNUSED_PAD src0_sel:DWORD src1_sel:WORD_1
	v_mul_f16_sdwa v44, v15, v35 dst_sel:DWORD dst_unused:UNUSED_PAD src0_sel:DWORD src1_sel:WORD_1
	v_fma_f16 v15, v15, v35, -v43
	v_fma_f16 v35, v39, v35, v44
	v_pack_b32_f16 v15, v15, v35
	s_waitcnt vmcnt(2)
	v_mul_f16_sdwa v35, v40, v36 dst_sel:DWORD dst_unused:UNUSED_PAD src0_sel:DWORD src1_sel:WORD_1
	v_mul_f16_sdwa v39, v17, v36 dst_sel:DWORD dst_unused:UNUSED_PAD src0_sel:DWORD src1_sel:WORD_1
	s_waitcnt vmcnt(0)
	v_mul_f16_sdwa v43, v41, v38 dst_sel:DWORD dst_unused:UNUSED_PAD src0_sel:DWORD src1_sel:WORD_1
	v_mul_f16_sdwa v44, v16, v38 dst_sel:DWORD dst_unused:UNUSED_PAD src0_sel:DWORD src1_sel:WORD_1
	v_mul_f16_sdwa v45, v42, v37 dst_sel:DWORD dst_unused:UNUSED_PAD src0_sel:DWORD src1_sel:WORD_1
	v_mul_f16_sdwa v46, v18, v37 dst_sel:DWORD dst_unused:UNUSED_PAD src0_sel:DWORD src1_sel:WORD_1
	v_fma_f16 v17, v17, v36, -v35
	v_fma_f16 v35, v40, v36, v39
	v_fma_f16 v16, v16, v38, -v43
	v_fma_f16 v36, v41, v38, v44
	;; [unrolled: 2-line block ×3, first 2 shown]
	v_pack_b32_f16 v16, v16, v36
	v_pack_b32_f16 v17, v17, v35
	v_pack_b32_f16 v18, v18, v37
	ds_write2_b32 v19, v15, v16 offset1:14
	ds_write2_b32 v19, v17, v18 offset0:35 offset1:49
	s_and_saveexec_b64 s[4:5], vcc
	s_cbranch_execz .LBB0_13
; %bb.12:
	v_mov_b32_e32 v16, s3
	v_add_co_u32_e64 v15, s[2:3], s2, v26
	v_addc_co_u32_e64 v16, s[2:3], 0, v16, s[2:3]
	global_load_dword v17, v[15:16], off offset:112
	global_load_dword v18, v[15:16], off offset:252
	ds_read2_b32 v[15:16], v19 offset0:28 offset1:63
	s_waitcnt lgkmcnt(0)
	v_lshrrev_b32_e32 v26, 16, v15
	v_lshrrev_b32_e32 v35, 16, v16
	s_waitcnt vmcnt(1)
	v_mul_f16_sdwa v36, v26, v17 dst_sel:DWORD dst_unused:UNUSED_PAD src0_sel:DWORD src1_sel:WORD_1
	v_mul_f16_sdwa v37, v15, v17 dst_sel:DWORD dst_unused:UNUSED_PAD src0_sel:DWORD src1_sel:WORD_1
	s_waitcnt vmcnt(0)
	v_mul_f16_sdwa v38, v35, v18 dst_sel:DWORD dst_unused:UNUSED_PAD src0_sel:DWORD src1_sel:WORD_1
	v_mul_f16_sdwa v39, v16, v18 dst_sel:DWORD dst_unused:UNUSED_PAD src0_sel:DWORD src1_sel:WORD_1
	v_fma_f16 v15, v15, v17, -v36
	v_fma_f16 v17, v26, v17, v37
	v_fma_f16 v16, v16, v18, -v38
	v_fma_f16 v18, v35, v18, v39
	v_pack_b32_f16 v15, v15, v17
	v_pack_b32_f16 v16, v16, v18
	ds_write2_b32 v19, v15, v16 offset0:28 offset1:63
.LBB0_13:
	s_or_b64 exec, exec, s[4:5]
	s_waitcnt lgkmcnt(0)
	s_barrier
	ds_read2_b32 v[15:16], v19 offset1:14
	ds_read2_b32 v[17:18], v19 offset0:35 offset1:49
	v_add_u32_e32 v26, 0x70, v29
	s_and_saveexec_b64 s[2:3], vcc
	s_cbranch_execz .LBB0_15
; %bb.14:
	v_lshl_add_u32 v13, v23, 2, v25
	ds_read2_b32 v[13:14], v13 offset0:28 offset1:63
	s_waitcnt lgkmcnt(0)
	v_lshrrev_b32_e32 v33, 16, v13
	v_lshrrev_b32_e32 v34, 16, v14
.LBB0_15:
	s_or_b64 exec, exec, s[2:3]
	s_waitcnt lgkmcnt(0)
	v_pk_add_f16 v35, v15, v17 neg_lo:[0,1] neg_hi:[0,1]
	v_pk_add_f16 v29, v16, v18 neg_lo:[0,1] neg_hi:[0,1]
	v_sub_f16_e32 v17, v33, v34
	v_pk_fma_f16 v34, v15, 2.0, v35 op_sel_hi:[1,0,1] neg_lo:[0,0,1] neg_hi:[0,0,1]
	v_sub_f16_e32 v14, v13, v14
	s_barrier
	ds_write_b64 v28, v[34:35]
	v_pk_fma_f16 v28, v16, 2.0, v29 op_sel_hi:[1,0,1] neg_lo:[0,0,1] neg_hi:[0,0,1]
	ds_write_b64 v26, v[28:29]
	s_and_saveexec_b64 s[2:3], vcc
	s_cbranch_execz .LBB0_17
; %bb.16:
	v_fma_f16 v13, v13, 2.0, -v14
	v_fma_f16 v15, v33, 2.0, -v17
	s_mov_b32 s4, 0x5040100
	v_pack_b32_f16 v15, v13, v15
	v_perm_b32 v16, v17, v14, s4
	ds_write_b64 v27, v[15:16]
.LBB0_17:
	s_or_b64 exec, exec, s[2:3]
	s_waitcnt lgkmcnt(0)
	s_barrier
	ds_read2_b32 v[15:16], v19 offset1:14
	ds_read2_b32 v[26:27], v19 offset0:28 offset1:42
	ds_read_b32 v13, v19 offset:224
	s_mov_b32 s2, 0xbb9c
	s_movk_i32 s5, 0x3b9c
	s_waitcnt lgkmcnt(2)
	v_lshrrev_b32_e32 v18, 16, v16
	v_mul_f16_sdwa v35, v0, v18 dst_sel:DWORD dst_unused:UNUSED_PAD src0_sel:WORD_1 src1_sel:DWORD
	s_waitcnt lgkmcnt(1)
	v_lshrrev_b32_e32 v29, 16, v26
	v_fma_f16 v35, v0, v16, v35
	v_mul_f16_sdwa v16, v0, v16 dst_sel:DWORD dst_unused:UNUSED_PAD src0_sel:WORD_1 src1_sel:DWORD
	v_fma_f16 v16, v0, v18, -v16
	v_mul_f16_sdwa v0, v1, v29 dst_sel:DWORD dst_unused:UNUSED_PAD src0_sel:WORD_1 src1_sel:DWORD
	v_lshrrev_b32_e32 v33, 16, v27
	v_fma_f16 v18, v1, v26, v0
	v_mul_f16_sdwa v0, v1, v26 dst_sel:DWORD dst_unused:UNUSED_PAD src0_sel:WORD_1 src1_sel:DWORD
	v_fma_f16 v29, v1, v29, -v0
	v_mul_f16_sdwa v0, v2, v33 dst_sel:DWORD dst_unused:UNUSED_PAD src0_sel:WORD_1 src1_sel:DWORD
	s_waitcnt lgkmcnt(0)
	v_lshrrev_b32_e32 v34, 16, v13
	v_fma_f16 v26, v2, v27, v0
	v_mul_f16_sdwa v0, v2, v27 dst_sel:DWORD dst_unused:UNUSED_PAD src0_sel:WORD_1 src1_sel:DWORD
	v_fma_f16 v27, v2, v33, -v0
	v_mul_f16_sdwa v0, v3, v34 dst_sel:DWORD dst_unused:UNUSED_PAD src0_sel:WORD_1 src1_sel:DWORD
	v_fma_f16 v33, v3, v13, v0
	v_mul_f16_sdwa v0, v3, v13 dst_sel:DWORD dst_unused:UNUSED_PAD src0_sel:WORD_1 src1_sel:DWORD
	v_fma_f16 v34, v3, v34, -v0
	v_add_f16_e32 v1, v18, v26
	v_fma_f16 v2, v1, -0.5, v15
	v_sub_f16_e32 v3, v16, v34
	v_fma_f16 v1, v3, s2, v2
	v_sub_f16_e32 v36, v29, v27
	s_mov_b32 s3, 0xb8b4
	v_sub_f16_e32 v13, v35, v18
	v_sub_f16_e32 v37, v33, v26
	v_fma_f16 v2, v3, s5, v2
	s_movk_i32 s12, 0x38b4
	v_fma_f16 v1, v36, s3, v1
	v_add_f16_e32 v13, v13, v37
	s_movk_i32 s4, 0x34f2
	v_fma_f16 v2, v36, s12, v2
	v_add_f16_e32 v0, v15, v35
	v_fma_f16 v1, v13, s4, v1
	v_fma_f16 v13, v13, s4, v2
	v_add_f16_e32 v2, v35, v33
	v_lshrrev_b32_e32 v28, 16, v15
	v_add_f16_e32 v0, v0, v18
	v_fma_f16 v15, v2, -0.5, v15
	v_add_f16_e32 v0, v0, v26
	v_fma_f16 v2, v36, s5, v15
	v_sub_f16_e32 v37, v18, v35
	v_sub_f16_e32 v38, v26, v33
	v_fma_f16 v15, v36, s2, v15
	v_add_f16_e32 v36, v29, v27
	v_add_f16_e32 v0, v0, v33
	v_fma_f16 v2, v3, s3, v2
	v_add_f16_e32 v37, v37, v38
	v_fma_f16 v3, v3, s12, v15
	v_fma_f16 v36, v36, -0.5, v28
	v_sub_f16_e32 v33, v35, v33
	v_fma_f16 v2, v37, s4, v2
	v_fma_f16 v3, v37, s4, v3
	;; [unrolled: 1-line block ×3, first 2 shown]
	v_sub_f16_e32 v37, v18, v26
	v_fma_f16 v18, v37, s12, v35
	v_sub_f16_e32 v26, v16, v29
	v_sub_f16_e32 v35, v34, v27
	v_add_f16_e32 v26, v26, v35
	v_fma_f16 v35, v33, s2, v36
	v_fma_f16 v35, v37, s3, v35
	v_add_f16_e32 v15, v28, v16
	v_fma_f16 v18, v26, s4, v18
	v_fma_f16 v26, v26, s4, v35
	v_add_f16_e32 v35, v16, v34
	v_add_f16_e32 v15, v15, v29
	v_fma_f16 v28, v35, -0.5, v28
	v_add_f16_e32 v15, v15, v27
	v_fma_f16 v35, v37, s2, v28
	v_sub_f16_e32 v16, v29, v16
	v_sub_f16_e32 v27, v27, v34
	v_fma_f16 v28, v37, s5, v28
	v_add_f16_e32 v15, v15, v34
	v_fma_f16 v35, v33, s12, v35
	v_add_f16_e32 v27, v16, v27
	v_fma_f16 v28, v33, s3, v28
	v_fma_f16 v16, v27, s4, v35
	;; [unrolled: 1-line block ×3, first 2 shown]
	v_pack_b32_f16 v28, v0, v15
	v_pack_b32_f16 v29, v1, v18
	s_barrier
	ds_write2_b32 v30, v28, v29 offset1:2
	v_pack_b32_f16 v28, v2, v16
	v_pack_b32_f16 v29, v3, v27
	ds_write2_b32 v30, v28, v29 offset0:4 offset1:6
	v_pack_b32_f16 v28, v13, v26
	ds_write_b32 v30, v28 offset:32
	s_waitcnt lgkmcnt(0)
	s_barrier
	s_and_saveexec_b64 s[2:3], s[0:1]
	s_cbranch_execz .LBB0_19
; %bb.18:
	ds_read2_b32 v[0:1], v19 offset1:10
	ds_read2_b32 v[2:3], v19 offset0:20 offset1:30
	ds_read2_b32 v[13:14], v19 offset0:40 offset1:50
	ds_read_b32 v31, v19 offset:240
	s_waitcnt lgkmcnt(3)
	v_lshrrev_b32_e32 v15, 16, v0
	v_lshrrev_b32_e32 v18, 16, v1
	s_waitcnt lgkmcnt(2)
	v_lshrrev_b32_e32 v16, 16, v2
	v_lshrrev_b32_e32 v27, 16, v3
	;; [unrolled: 3-line block ×3, first 2 shown]
	s_waitcnt lgkmcnt(0)
	v_lshrrev_b32_e32 v32, 16, v31
.LBB0_19:
	s_or_b64 exec, exec, s[2:3]
	s_and_saveexec_b64 s[2:3], s[0:1]
	s_cbranch_execz .LBB0_21
; %bb.20:
	v_mul_f16_sdwa v34, v6, v27 dst_sel:DWORD dst_unused:UNUSED_PAD src0_sel:WORD_1 src1_sel:DWORD
	v_mul_f16_sdwa v28, v4, v18 dst_sel:DWORD dst_unused:UNUSED_PAD src0_sel:WORD_1 src1_sel:DWORD
	;; [unrolled: 1-line block ×3, first 2 shown]
	v_fma_f16 v34, v6, v3, v34
	v_mul_f16_sdwa v37, v5, v16 dst_sel:DWORD dst_unused:UNUSED_PAD src0_sel:WORD_1 src1_sel:DWORD
	v_mul_f16_sdwa v38, v11, v17 dst_sel:DWORD dst_unused:UNUSED_PAD src0_sel:WORD_1 src1_sel:DWORD
	;; [unrolled: 1-line block ×3, first 2 shown]
	v_fma_f16 v28, v4, v1, v28
	v_fma_f16 v29, v12, v31, v29
	v_mul_f16_sdwa v33, v7, v26 dst_sel:DWORD dst_unused:UNUSED_PAD src0_sel:WORD_1 src1_sel:DWORD
	v_fma_f16 v37, v5, v2, v37
	v_fma_f16 v38, v11, v14, v38
	v_mul_f16_sdwa v31, v12, v31 dst_sel:DWORD dst_unused:UNUSED_PAD src0_sel:WORD_1 src1_sel:DWORD
	v_mul_f16_sdwa v1, v4, v1 dst_sel:DWORD dst_unused:UNUSED_PAD src0_sel:WORD_1 src1_sel:DWORD
	v_fma_f16 v3, v6, v27, -v3
	v_mul_f16_sdwa v6, v7, v13 dst_sel:DWORD dst_unused:UNUSED_PAD src0_sel:WORD_1 src1_sel:DWORD
	v_mul_f16_sdwa v14, v11, v14 dst_sel:DWORD dst_unused:UNUSED_PAD src0_sel:WORD_1 src1_sel:DWORD
	;; [unrolled: 1-line block ×3, first 2 shown]
	v_fma_f16 v33, v7, v13, v33
	v_fma_f16 v12, v12, v32, -v31
	v_fma_f16 v1, v4, v18, -v1
	;; [unrolled: 1-line block ×5, first 2 shown]
	v_sub_f16_e32 v30, v28, v29
	v_sub_f16_e32 v35, v33, v34
	;; [unrolled: 1-line block ×3, first 2 shown]
	v_add_f16_e32 v4, v12, v1
	v_add_f16_e32 v7, v6, v3
	;; [unrolled: 1-line block ×6, first 2 shown]
	v_sub_f16_e32 v1, v1, v12
	v_sub_f16_e32 v3, v6, v3
	;; [unrolled: 1-line block ×5, first 2 shown]
	v_add_f16_e32 v35, v35, v39
	v_sub_f16_e32 v13, v4, v7
	v_add_f16_e32 v17, v5, v4
	v_sub_f16_e32 v27, v18, v26
	;; [unrolled: 2-line block ×3, first 2 shown]
	v_sub_f16_e32 v11, v3, v2
	v_add_f16_e32 v3, v3, v2
	v_add_f16_e32 v35, v35, v30
	v_mul_f16_e32 v13, 0x3a52, v13
	v_sub_f16_e32 v14, v7, v5
	s_movk_i32 s4, 0x2b26
	v_add_f16_e32 v7, v7, v17
	v_mul_f16_e32 v27, 0x3a52, v27
	v_sub_f16_e32 v29, v26, v28
	v_add_f16_e32 v26, v26, v32
	v_add_f16_e32 v3, v3, v1
	v_sub_f16_e32 v30, v39, v30
	v_sub_f16_e32 v1, v2, v1
	v_mul_f16_e32 v40, 0x3846, v40
	s_mov_b32 s0, 0xb574
	v_mul_f16_e32 v16, 0x2b26, v14
	v_fma_f16 v14, v14, s4, v13
	v_add_f16_e32 v15, v15, v7
	s_mov_b32 s5, 0xbcab
	v_mul_f16_e32 v31, 0x2b26, v29
	v_fma_f16 v29, v29, s4, v27
	v_add_f16_e32 v0, v0, v26
	v_mul_f16_e32 v11, 0x3846, v11
	v_mul_f16_e32 v33, 0xbb00, v30
	s_movk_i32 s4, 0x3574
	v_mul_f16_e32 v2, 0xbb00, v1
	v_fma_f16 v41, v36, s0, v40
	v_fma_f16 v7, v7, s5, v15
	;; [unrolled: 1-line block ×4, first 2 shown]
	s_mov_b32 s0, 0xbb00
	v_fma_f16 v33, v36, s4, -v33
	v_sub_f16_e32 v4, v5, v4
	s_mov_b32 s5, 0xb9e0
	v_fma_f16 v2, v6, s4, -v2
	s_movk_i32 s4, 0x39e0
	s_mov_b32 s1, 0xb70e
	v_fma_f16 v5, v4, s5, -v13
	v_sub_f16_e32 v18, v28, v18
	v_fma_f16 v4, v4, s4, -v16
	v_fma_f16 v1, v1, s0, -v11
	v_add_f16_e32 v14, v14, v7
	v_fma_f16 v12, v3, s1, v12
	v_add_f16_e32 v5, v5, v7
	v_fma_f16 v27, v18, s5, -v27
	v_fma_f16 v2, v3, s1, v2
	v_add_f16_e32 v4, v4, v7
	v_fma_f16 v7, v30, s0, -v40
	v_fma_f16 v1, v3, s1, v1
	v_fma_f16 v3, v18, s4, -v31
	v_fma_f16 v41, v35, s1, v41
	v_add_f16_e32 v29, v29, v26
	v_fma_f16 v33, v35, s1, v33
	v_add_f16_e32 v27, v27, v26
	;; [unrolled: 2-line block ×3, first 2 shown]
	v_add_f16_e32 v13, v33, v5
	v_sub_f16_e32 v6, v27, v2
	v_sub_f16_e32 v16, v4, v7
	v_add_f16_e32 v11, v1, v3
	v_add_f16_e32 v4, v7, v4
	v_sub_f16_e32 v1, v3, v1
	v_sub_f16_e32 v3, v5, v33
	v_add_f16_e32 v2, v2, v27
	v_sub_f16_e32 v5, v14, v41
	v_add_f16_e32 v7, v12, v29
	v_pack_b32_f16 v0, v0, v15
	ds_write_b32 v19, v0
	v_lshl_add_u32 v0, v23, 2, v25
	v_pack_b32_f16 v5, v7, v5
	v_pack_b32_f16 v2, v2, v3
	v_add_f16_e32 v17, v41, v14
	v_sub_f16_e32 v32, v29, v12
	ds_write2_b32 v0, v5, v2 offset0:10 offset1:20
	v_pack_b32_f16 v1, v1, v4
	v_pack_b32_f16 v2, v11, v16
	ds_write2_b32 v0, v1, v2 offset0:30 offset1:40
	v_pack_b32_f16 v1, v6, v13
	v_pack_b32_f16 v2, v32, v17
	ds_write2_b32 v0, v1, v2 offset0:50 offset1:60
.LBB0_21:
	s_or_b64 exec, exec, s[2:3]
	s_waitcnt lgkmcnt(0)
	s_barrier
	ds_read2_b32 v[0:1], v19 offset1:14
	s_mov_b32 s12, 0x1d41d41d
	s_mov_b32 s13, 0x3f8d41d4
	v_mad_u64_u32 v[4:5], s[0:1], s10, v10, 0
	s_waitcnt lgkmcnt(0)
	v_lshrrev_b32_e32 v7, 16, v0
	v_mul_f16_sdwa v2, v24, v7 dst_sel:DWORD dst_unused:UNUSED_PAD src0_sel:WORD_1 src1_sel:DWORD
	v_fma_f16 v2, v24, v0, v2
	v_cvt_f32_f16_e32 v2, v2
	s_movk_i32 s10, 0x1ff
	v_mad_u64_u32 v[5:6], s[0:1], s11, v10, v[5:6]
	v_cvt_f64_f32_e32 v[2:3], v2
	s_movk_i32 s11, 0xffe
	v_mul_f16_sdwa v0, v24, v0 dst_sel:DWORD dst_unused:UNUSED_PAD src0_sel:WORD_1 src1_sel:DWORD
	v_fma_f16 v0, v24, v7, -v0
	v_mul_f64 v[2:3], v[2:3], s[12:13]
	v_cvt_f32_f16_e32 v0, v0
	s_movk_i32 s14, 0x40f
	s_mov_b32 s15, 0x8000
	v_and_or_b32 v2, v3, s10, v2
	v_cmp_ne_u32_e64 s[0:1], 0, v2
	v_lshrrev_b32_e32 v6, 8, v3
	v_bfe_u32 v10, v3, 20, 11
	v_cndmask_b32_e64 v2, 0, 1, s[0:1]
	v_sub_u32_e32 v11, 0x3f1, v10
	v_and_or_b32 v12, v6, s11, v2
	v_or_b32_e32 v2, 0x1000, v12
	v_med3_i32 v6, v11, 0, 13
	v_lshrrev_b32_e32 v11, v6, v2
	v_lshlrev_b32_e32 v6, v6, v11
	v_cmp_ne_u32_e64 s[0:1], v6, v2
	v_cndmask_b32_e64 v2, 0, 1, s[0:1]
	v_add_u32_e32 v10, 0xfffffc10, v10
	v_or_b32_e32 v2, v11, v2
	v_lshl_or_b32 v6, v10, 12, v12
	v_cmp_gt_i32_e64 s[0:1], 1, v10
	v_cndmask_b32_e64 v2, v6, v2, s[0:1]
	v_and_b32_e32 v6, 7, v2
	v_cmp_lt_i32_e64 s[0:1], 5, v6
	v_cmp_eq_u32_e64 s[2:3], 3, v6
	v_cvt_f64_f32_e32 v[6:7], v0
	v_lshrrev_b32_e32 v2, 2, v2
	s_or_b64 s[0:1], s[2:3], s[0:1]
	v_addc_co_u32_e64 v11, s[0:1], 0, v2, s[0:1]
	v_mul_f64 v[6:7], v[6:7], s[12:13]
	v_mov_b32_e32 v2, 0x7c00
	v_cmp_gt_i32_e64 s[0:1], 31, v10
	v_cndmask_b32_e64 v0, v2, v11, s[0:1]
	v_cmp_ne_u32_e64 s[0:1], 0, v12
	v_cndmask_b32_e64 v11, 0, 1, s[0:1]
	v_lshl_or_b32 v11, v11, 9, v2
	v_cmp_eq_u32_e64 s[0:1], s14, v10
	v_cndmask_b32_e64 v0, v0, v11, s[0:1]
	v_lshrrev_b32_e32 v3, 16, v3
	v_and_or_b32 v3, v3, s15, v0
	v_and_or_b32 v0, v7, s10, v6
	v_cmp_ne_u32_e64 s[0:1], 0, v0
	v_cndmask_b32_e64 v0, 0, 1, s[0:1]
	v_lshrrev_b32_e32 v6, 8, v7
	v_bfe_u32 v10, v7, 20, 11
	v_and_or_b32 v0, v6, s11, v0
	v_sub_u32_e32 v11, 0x3f1, v10
	v_or_b32_e32 v6, 0x1000, v0
	v_med3_i32 v11, v11, 0, 13
	v_lshrrev_b32_e32 v12, v11, v6
	v_lshlrev_b32_e32 v11, v11, v12
	v_cmp_ne_u32_e64 s[0:1], v11, v6
	v_cndmask_b32_e64 v6, 0, 1, s[0:1]
	v_or_b32_e32 v6, v12, v6
	v_add_u32_e32 v12, 0xfffffc10, v10
	v_lshl_or_b32 v10, v12, 12, v0
	v_cmp_gt_i32_e64 s[0:1], 1, v12
	v_cndmask_b32_e64 v6, v10, v6, s[0:1]
	v_and_b32_e32 v10, 7, v6
	v_cmp_lt_i32_e64 s[0:1], 5, v10
	v_cmp_eq_u32_e64 s[2:3], 3, v10
	v_lshrrev_b32_e32 v6, 2, v6
	s_or_b64 s[0:1], s[2:3], s[0:1]
	v_addc_co_u32_e64 v6, s[0:1], 0, v6, s[0:1]
	v_cmp_gt_i32_e64 s[0:1], 31, v12
	v_cndmask_b32_e64 v6, v2, v6, s[0:1]
	v_cmp_ne_u32_e64 s[0:1], 0, v0
	v_cndmask_b32_e64 v0, 0, 1, s[0:1]
	v_mad_u64_u32 v[10:11], s[0:1], s8, v23, 0
	v_cmp_eq_u32_e64 s[0:1], s14, v12
	ds_read2_b32 v[12:13], v19 offset0:35 offset1:49
	v_lshl_or_b32 v0, v0, 9, v2
	v_cndmask_b32_e64 v14, v6, v0, s[0:1]
	v_mov_b32_e32 v0, v11
	v_lshrrev_b32_e32 v15, 16, v7
	v_mad_u64_u32 v[6:7], s[0:1], s9, v23, v[0:1]
	s_waitcnt lgkmcnt(0)
	v_lshrrev_b32_e32 v0, 16, v12
	v_mul_f16_sdwa v7, v22, v0 dst_sel:DWORD dst_unused:UNUSED_PAD src0_sel:WORD_1 src1_sel:DWORD
	v_fma_f16 v7, v22, v12, v7
	v_cvt_f32_f16_e32 v7, v7
	v_mov_b32_e32 v11, v6
	v_and_or_b32 v14, v15, s15, v14
	v_and_b32_e32 v3, 0xffff, v3
	v_cvt_f64_f32_e32 v[6:7], v7
	v_lshl_or_b32 v14, v14, 16, v3
	v_lshlrev_b64 v[3:4], 2, v[4:5]
	v_mov_b32_e32 v15, s7
	v_mul_f64 v[5:6], v[6:7], s[12:13]
	v_add_co_u32_e64 v7, s[0:1], s6, v3
	v_addc_co_u32_e64 v15, s[0:1], v15, v4, s[0:1]
	v_lshlrev_b64 v[3:4], 2, v[10:11]
	v_add_co_u32_e64 v3, s[0:1], v7, v3
	v_addc_co_u32_e64 v4, s[0:1], v15, v4, s[0:1]
	v_and_or_b32 v5, v6, s10, v5
	v_cmp_ne_u32_e64 s[0:1], 0, v5
	v_cndmask_b32_e64 v5, 0, 1, s[0:1]
	v_lshrrev_b32_e32 v7, 8, v6
	v_bfe_u32 v10, v6, 20, 11
	v_and_or_b32 v5, v7, s11, v5
	v_sub_u32_e32 v11, 0x3f1, v10
	v_or_b32_e32 v7, 0x1000, v5
	v_med3_i32 v11, v11, 0, 13
	global_store_dword v[3:4], v14, off
	v_lshrrev_b32_e32 v14, v11, v7
	v_lshlrev_b32_e32 v11, v11, v14
	v_cmp_ne_u32_e64 s[0:1], v11, v7
	v_mul_f16_sdwa v11, v22, v12 dst_sel:DWORD dst_unused:UNUSED_PAD src0_sel:WORD_1 src1_sel:DWORD
	v_cndmask_b32_e64 v7, 0, 1, s[0:1]
	v_fma_f16 v0, v22, v0, -v11
	v_or_b32_e32 v7, v14, v7
	v_add_u32_e32 v14, 0xfffffc10, v10
	v_cvt_f32_f16_e32 v0, v0
	v_lshl_or_b32 v10, v14, 12, v5
	v_cmp_gt_i32_e64 s[0:1], 1, v14
	v_cndmask_b32_e64 v7, v10, v7, s[0:1]
	v_and_b32_e32 v10, 7, v7
	v_cmp_lt_i32_e64 s[0:1], 5, v10
	v_cmp_eq_u32_e64 s[2:3], 3, v10
	v_cvt_f64_f32_e32 v[10:11], v0
	v_lshrrev_b32_e32 v7, 2, v7
	s_or_b64 s[0:1], s[2:3], s[0:1]
	v_addc_co_u32_e64 v0, s[0:1], 0, v7, s[0:1]
	v_mul_f64 v[10:11], v[10:11], s[12:13]
	v_cmp_gt_i32_e64 s[0:1], 31, v14
	v_cndmask_b32_e64 v0, v2, v0, s[0:1]
	v_cmp_ne_u32_e64 s[0:1], 0, v5
	v_cndmask_b32_e64 v5, 0, 1, s[0:1]
	v_lshl_or_b32 v5, v5, 9, v2
	v_cmp_eq_u32_e64 s[0:1], s14, v14
	v_cndmask_b32_e64 v0, v0, v5, s[0:1]
	v_lshrrev_b32_e32 v5, 16, v6
	v_and_or_b32 v0, v5, s15, v0
	v_and_or_b32 v5, v11, s10, v10
	v_cmp_ne_u32_e64 s[0:1], 0, v5
	v_cndmask_b32_e64 v5, 0, 1, s[0:1]
	v_lshrrev_b32_e32 v6, 8, v11
	v_bfe_u32 v7, v11, 20, 11
	v_and_or_b32 v5, v6, s11, v5
	v_sub_u32_e32 v10, 0x3f1, v7
	v_or_b32_e32 v6, 0x1000, v5
	v_med3_i32 v10, v10, 0, 13
	v_lshrrev_b32_e32 v12, v10, v6
	v_lshlrev_b32_e32 v10, v10, v12
	v_cmp_ne_u32_e64 s[0:1], v10, v6
	v_cndmask_b32_e64 v6, 0, 1, s[0:1]
	v_add_u32_e32 v7, 0xfffffc10, v7
	v_or_b32_e32 v6, v12, v6
	v_lshl_or_b32 v10, v7, 12, v5
	v_cmp_gt_i32_e64 s[0:1], 1, v7
	v_cndmask_b32_e64 v6, v10, v6, s[0:1]
	v_and_b32_e32 v10, 7, v6
	v_cmp_lt_i32_e64 s[0:1], 5, v10
	v_cmp_eq_u32_e64 s[2:3], 3, v10
	v_lshrrev_b32_e32 v6, 2, v6
	s_or_b64 s[0:1], s[2:3], s[0:1]
	v_addc_co_u32_e64 v6, s[0:1], 0, v6, s[0:1]
	v_cmp_gt_i32_e64 s[0:1], 31, v7
	v_cndmask_b32_e64 v6, v2, v6, s[0:1]
	v_cmp_ne_u32_e64 s[0:1], 0, v5
	v_cndmask_b32_e64 v5, 0, 1, s[0:1]
	v_lshl_or_b32 v5, v5, 9, v2
	v_cmp_eq_u32_e64 s[0:1], s14, v7
	v_cndmask_b32_e64 v5, v6, v5, s[0:1]
	v_lshrrev_b32_e32 v6, 16, v11
	v_lshrrev_b32_e32 v10, 16, v1
	v_and_or_b32 v7, v6, s15, v5
	v_mul_f16_sdwa v5, v21, v10 dst_sel:DWORD dst_unused:UNUSED_PAD src0_sel:WORD_1 src1_sel:DWORD
	v_fma_f16 v5, v21, v1, v5
	v_cvt_f32_f16_e32 v5, v5
	s_mul_i32 s0, s9, 35
	s_mul_hi_u32 s1, s8, 35
	s_add_i32 s1, s1, s0
	v_cvt_f64_f32_e32 v[5:6], v5
	s_mul_i32 s0, s8, 35
	v_and_b32_e32 v0, 0xffff, v0
	s_lshl_b64 s[6:7], s[0:1], 2
	v_mul_f64 v[5:6], v[5:6], s[12:13]
	v_lshl_or_b32 v0, v7, 16, v0
	v_mov_b32_e32 v7, s7
	v_add_co_u32_e64 v3, s[0:1], s6, v3
	v_addc_co_u32_e64 v4, s[0:1], v4, v7, s[0:1]
	global_store_dword v[3:4], v0, off
	v_and_or_b32 v0, v6, s10, v5
	v_cmp_ne_u32_e64 s[0:1], 0, v0
	v_cndmask_b32_e64 v0, 0, 1, s[0:1]
	v_lshrrev_b32_e32 v5, 8, v6
	v_bfe_u32 v11, v6, 20, 11
	v_and_or_b32 v5, v5, s11, v0
	v_sub_u32_e32 v12, 0x3f1, v11
	v_or_b32_e32 v0, 0x1000, v5
	v_med3_i32 v12, v12, 0, 13
	v_lshrrev_b32_e32 v14, v12, v0
	v_mul_f16_sdwa v1, v21, v1 dst_sel:DWORD dst_unused:UNUSED_PAD src0_sel:WORD_1 src1_sel:DWORD
	v_lshlrev_b32_e32 v12, v12, v14
	v_fma_f16 v1, v21, v10, -v1
	v_cmp_ne_u32_e64 s[0:1], v12, v0
	v_cvt_f32_f16_e32 v1, v1
	v_cndmask_b32_e64 v0, 0, 1, s[0:1]
	v_add_u32_e32 v11, 0xfffffc10, v11
	v_or_b32_e32 v0, v14, v0
	v_lshl_or_b32 v12, v11, 12, v5
	v_cmp_gt_i32_e64 s[0:1], 1, v11
	v_cndmask_b32_e64 v0, v12, v0, s[0:1]
	v_and_b32_e32 v12, 7, v0
	v_lshrrev_b32_e32 v10, 2, v0
	v_cvt_f64_f32_e32 v[0:1], v1
	v_cmp_lt_i32_e64 s[0:1], 5, v12
	v_cmp_eq_u32_e64 s[2:3], 3, v12
	s_or_b64 s[0:1], s[2:3], s[0:1]
	v_mul_f64 v[0:1], v[0:1], s[12:13]
	v_addc_co_u32_e64 v10, s[0:1], 0, v10, s[0:1]
	v_cmp_gt_i32_e64 s[0:1], 31, v11
	v_cndmask_b32_e64 v10, v2, v10, s[0:1]
	v_cmp_ne_u32_e64 s[0:1], 0, v5
	v_cndmask_b32_e64 v5, 0, 1, s[0:1]
	v_lshl_or_b32 v5, v5, 9, v2
	v_cmp_eq_u32_e64 s[0:1], s14, v11
	v_and_or_b32 v0, v1, s10, v0
	v_cndmask_b32_e64 v5, v10, v5, s[0:1]
	v_lshrrev_b32_e32 v6, 16, v6
	v_cmp_ne_u32_e64 s[0:1], 0, v0
	v_and_or_b32 v5, v6, s15, v5
	v_cndmask_b32_e64 v0, 0, 1, s[0:1]
	v_lshrrev_b32_e32 v6, 8, v1
	v_bfe_u32 v10, v1, 20, 11
	v_and_or_b32 v0, v6, s11, v0
	v_sub_u32_e32 v11, 0x3f1, v10
	v_or_b32_e32 v6, 0x1000, v0
	v_med3_i32 v11, v11, 0, 13
	v_lshrrev_b32_e32 v12, v11, v6
	v_lshlrev_b32_e32 v11, v11, v12
	v_cmp_ne_u32_e64 s[0:1], v11, v6
	v_cndmask_b32_e64 v6, 0, 1, s[0:1]
	v_add_u32_e32 v10, 0xfffffc10, v10
	v_or_b32_e32 v6, v12, v6
	v_lshl_or_b32 v11, v10, 12, v0
	v_cmp_gt_i32_e64 s[0:1], 1, v10
	v_cndmask_b32_e64 v6, v11, v6, s[0:1]
	v_and_b32_e32 v11, 7, v6
	v_cmp_lt_i32_e64 s[0:1], 5, v11
	v_cmp_eq_u32_e64 s[2:3], 3, v11
	v_lshrrev_b32_e32 v6, 2, v6
	s_or_b64 s[0:1], s[2:3], s[0:1]
	v_addc_co_u32_e64 v6, s[0:1], 0, v6, s[0:1]
	v_cmp_gt_i32_e64 s[0:1], 31, v10
	v_cndmask_b32_e64 v6, v2, v6, s[0:1]
	v_cmp_ne_u32_e64 s[0:1], 0, v0
	v_cndmask_b32_e64 v0, 0, 1, s[0:1]
	v_lshl_or_b32 v0, v0, 9, v2
	v_cmp_eq_u32_e64 s[0:1], s14, v10
	v_cndmask_b32_e64 v0, v6, v0, s[0:1]
	v_lshrrev_b32_e32 v1, 16, v1
	v_lshrrev_b32_e32 v10, 16, v13
	v_and_or_b32 v6, v1, s15, v0
	v_mul_f16_sdwa v0, v20, v10 dst_sel:DWORD dst_unused:UNUSED_PAD src0_sel:WORD_1 src1_sel:DWORD
	v_fma_f16 v0, v20, v13, v0
	v_cvt_f32_f16_e32 v0, v0
	s_mul_hi_u32 s1, s8, 0xffffffeb
	s_mul_i32 s0, s9, 0xffffffeb
	s_sub_i32 s1, s1, s8
	v_cvt_f64_f32_e32 v[0:1], v0
	s_add_i32 s1, s1, s0
	s_mul_i32 s0, s8, 0xffffffeb
	v_and_b32_e32 v5, 0xffff, v5
	v_mul_f64 v[0:1], v[0:1], s[12:13]
	s_lshl_b64 s[4:5], s[0:1], 2
	v_lshl_or_b32 v5, v6, 16, v5
	v_mov_b32_e32 v6, s5
	v_add_co_u32_e64 v3, s[0:1], s4, v3
	v_addc_co_u32_e64 v4, s[0:1], v4, v6, s[0:1]
	v_and_or_b32 v0, v1, s10, v0
	v_cmp_ne_u32_e64 s[0:1], 0, v0
	global_store_dword v[3:4], v5, off
	v_cndmask_b32_e64 v0, 0, 1, s[0:1]
	v_lshrrev_b32_e32 v5, 8, v1
	v_bfe_u32 v6, v1, 20, 11
	v_and_or_b32 v0, v5, s11, v0
	v_sub_u32_e32 v11, 0x3f1, v6
	v_or_b32_e32 v5, 0x1000, v0
	v_med3_i32 v11, v11, 0, 13
	v_lshrrev_b32_e32 v12, v11, v5
	v_lshlrev_b32_e32 v11, v11, v12
	v_cmp_ne_u32_e64 s[0:1], v11, v5
	v_cndmask_b32_e64 v5, 0, 1, s[0:1]
	v_or_b32_e32 v5, v12, v5
	v_mul_f16_sdwa v12, v20, v13 dst_sel:DWORD dst_unused:UNUSED_PAD src0_sel:WORD_1 src1_sel:DWORD
	v_fma_f16 v10, v20, v10, -v12
	v_add_u32_e32 v11, 0xfffffc10, v6
	v_cvt_f32_f16_e32 v10, v10
	v_lshl_or_b32 v6, v11, 12, v0
	v_cmp_gt_i32_e64 s[0:1], 1, v11
	v_cndmask_b32_e64 v5, v6, v5, s[0:1]
	v_and_b32_e32 v6, 7, v5
	v_cmp_lt_i32_e64 s[0:1], 5, v6
	v_cmp_eq_u32_e64 s[2:3], 3, v6
	v_lshrrev_b32_e32 v12, 2, v5
	v_cvt_f64_f32_e32 v[5:6], v10
	s_or_b64 s[0:1], s[2:3], s[0:1]
	v_addc_co_u32_e64 v10, s[0:1], 0, v12, s[0:1]
	v_mul_f64 v[5:6], v[5:6], s[12:13]
	v_cmp_gt_i32_e64 s[0:1], 31, v11
	v_cndmask_b32_e64 v10, v2, v10, s[0:1]
	v_cmp_ne_u32_e64 s[0:1], 0, v0
	v_cndmask_b32_e64 v0, 0, 1, s[0:1]
	v_lshl_or_b32 v0, v0, 9, v2
	v_cmp_eq_u32_e64 s[0:1], s14, v11
	v_cndmask_b32_e64 v0, v10, v0, s[0:1]
	v_lshrrev_b32_e32 v1, 16, v1
	v_and_or_b32 v0, v1, s15, v0
	v_and_or_b32 v1, v6, s10, v5
	v_cmp_ne_u32_e64 s[0:1], 0, v1
	v_cndmask_b32_e64 v1, 0, 1, s[0:1]
	v_lshrrev_b32_e32 v5, 8, v6
	v_bfe_u32 v10, v6, 20, 11
	v_and_or_b32 v1, v5, s11, v1
	v_sub_u32_e32 v11, 0x3f1, v10
	v_or_b32_e32 v5, 0x1000, v1
	v_med3_i32 v11, v11, 0, 13
	v_lshrrev_b32_e32 v12, v11, v5
	v_lshlrev_b32_e32 v11, v11, v12
	v_cmp_ne_u32_e64 s[0:1], v11, v5
	v_cndmask_b32_e64 v5, 0, 1, s[0:1]
	v_add_u32_e32 v10, 0xfffffc10, v10
	v_or_b32_e32 v5, v12, v5
	v_lshl_or_b32 v11, v10, 12, v1
	v_cmp_gt_i32_e64 s[0:1], 1, v10
	v_cndmask_b32_e64 v5, v11, v5, s[0:1]
	v_and_b32_e32 v11, 7, v5
	v_cmp_lt_i32_e64 s[0:1], 5, v11
	v_cmp_eq_u32_e64 s[2:3], 3, v11
	v_lshrrev_b32_e32 v5, 2, v5
	s_or_b64 s[0:1], s[2:3], s[0:1]
	v_addc_co_u32_e64 v5, s[0:1], 0, v5, s[0:1]
	v_cmp_gt_i32_e64 s[0:1], 31, v10
	v_cndmask_b32_e64 v5, v2, v5, s[0:1]
	v_cmp_ne_u32_e64 s[0:1], 0, v1
	v_cndmask_b32_e64 v1, 0, 1, s[0:1]
	v_lshl_or_b32 v1, v1, 9, v2
	v_cmp_eq_u32_e64 s[0:1], s14, v10
	v_cndmask_b32_e64 v1, v5, v1, s[0:1]
	v_lshrrev_b32_e32 v5, 16, v6
	v_and_or_b32 v1, v5, s15, v1
	v_and_b32_e32 v0, 0xffff, v0
	v_lshl_or_b32 v5, v1, 16, v0
	v_add_co_u32_e64 v0, s[0:1], s6, v3
	v_addc_co_u32_e64 v1, s[0:1], v4, v7, s[0:1]
	global_store_dword v[0:1], v5, off
	s_and_b64 exec, exec, vcc
	s_cbranch_execz .LBB0_23
; %bb.22:
	global_load_dword v5, v[8:9], off offset:112
	global_load_dword v11, v[8:9], off offset:252
	ds_read2_b32 v[3:4], v19 offset0:28 offset1:63
	v_add_co_u32_e32 v0, vcc, s4, v0
	s_waitcnt lgkmcnt(0)
	v_lshrrev_b32_e32 v6, 16, v3
	v_lshrrev_b32_e32 v12, 16, v4
	s_waitcnt vmcnt(1)
	v_mul_f16_sdwa v7, v6, v5 dst_sel:DWORD dst_unused:UNUSED_PAD src0_sel:DWORD src1_sel:WORD_1
	v_mul_f16_sdwa v8, v3, v5 dst_sel:DWORD dst_unused:UNUSED_PAD src0_sel:DWORD src1_sel:WORD_1
	v_fma_f16 v3, v3, v5, v7
	s_waitcnt vmcnt(0)
	v_mul_f16_sdwa v9, v12, v11 dst_sel:DWORD dst_unused:UNUSED_PAD src0_sel:DWORD src1_sel:WORD_1
	v_fma_f16 v5, v5, v6, -v8
	v_cvt_f32_f16_e32 v3, v3
	v_cvt_f32_f16_e32 v7, v5
	v_fma_f16 v5, v4, v11, v9
	v_cvt_f32_f16_e32 v9, v5
	v_cvt_f64_f32_e32 v[5:6], v3
	v_cvt_f64_f32_e32 v[7:8], v7
	v_mov_b32_e32 v3, s5
	v_cvt_f64_f32_e32 v[9:10], v9
	v_mul_f64 v[5:6], v[5:6], s[12:13]
	v_mul_f64 v[7:8], v[7:8], s[12:13]
	v_addc_co_u32_e32 v1, vcc, v1, v3, vcc
	v_mul_f16_sdwa v13, v4, v11 dst_sel:DWORD dst_unused:UNUSED_PAD src0_sel:DWORD src1_sel:WORD_1
	v_mul_f64 v[3:4], v[9:10], s[12:13]
	v_and_or_b32 v5, v6, s10, v5
	v_and_or_b32 v7, v8, s10, v7
	v_cmp_ne_u32_e32 vcc, 0, v5
	v_lshrrev_b32_e32 v9, 8, v6
	v_bfe_u32 v10, v6, 20, 11
	v_and_or_b32 v3, v4, s10, v3
	v_cndmask_b32_e64 v5, 0, 1, vcc
	v_cmp_ne_u32_e32 vcc, 0, v7
	v_lshrrev_b32_e32 v14, 8, v8
	v_bfe_u32 v15, v8, 20, 11
	v_bfe_u32 v17, v4, 20, 11
	v_sub_u32_e32 v18, 0x3f1, v10
	v_cndmask_b32_e64 v7, 0, 1, vcc
	v_cmp_ne_u32_e32 vcc, 0, v3
	v_and_or_b32 v5, v9, s11, v5
	v_lshrrev_b32_e32 v16, 8, v4
	v_sub_u32_e32 v19, 0x3f1, v15
	v_cndmask_b32_e64 v3, 0, 1, vcc
	v_sub_u32_e32 v20, 0x3f1, v17
	v_med3_i32 v9, v18, 0, 13
	v_and_or_b32 v7, v14, s11, v7
	v_or_b32_e32 v18, 0x1000, v5
	v_add_u32_e32 v10, 0xfffffc10, v10
	v_med3_i32 v14, v19, 0, 13
	v_and_or_b32 v3, v16, s11, v3
	v_med3_i32 v16, v20, 0, 13
	v_cmp_ne_u32_e32 vcc, 0, v5
	v_or_b32_e32 v20, 0x1000, v7
	v_lshrrev_b32_e32 v24, v9, v18
	v_add_u32_e32 v15, 0xfffffc10, v15
	v_lshl_or_b32 v19, v10, 12, v5
	v_cndmask_b32_e64 v5, 0, 1, vcc
	v_cmp_ne_u32_e32 vcc, 0, v7
	v_or_b32_e32 v22, 0x1000, v3
	v_lshrrev_b32_e32 v25, v14, v20
	v_lshlrev_b32_e32 v9, v9, v24
	v_lshl_or_b32 v21, v15, 12, v7
	v_cndmask_b32_e64 v7, 0, 1, vcc
	v_lshrrev_b32_e32 v26, v16, v22
	v_lshlrev_b32_e32 v14, v14, v25
	v_cmp_ne_u32_e32 vcc, v9, v18
	v_lshlrev_b32_e32 v16, v16, v26
	v_cndmask_b32_e64 v9, 0, 1, vcc
	v_cmp_ne_u32_e32 vcc, v14, v20
	v_cndmask_b32_e64 v14, 0, 1, vcc
	v_cmp_ne_u32_e32 vcc, v16, v22
	v_cndmask_b32_e64 v16, 0, 1, vcc
	v_or_b32_e32 v9, v24, v9
	v_cmp_gt_i32_e32 vcc, 1, v10
	v_add_u32_e32 v17, 0xfffffc10, v17
	v_or_b32_e32 v14, v25, v14
	v_cndmask_b32_e32 v9, v19, v9, vcc
	v_cmp_gt_i32_e32 vcc, 1, v15
	v_lshl_or_b32 v23, v17, 12, v3
	v_or_b32_e32 v16, v26, v16
	v_cndmask_b32_e32 v14, v21, v14, vcc
	v_cmp_gt_i32_e32 vcc, 1, v17
	v_and_b32_e32 v18, 7, v9
	v_cndmask_b32_e32 v16, v23, v16, vcc
	v_cmp_lt_i32_e32 vcc, 5, v18
	v_cmp_eq_u32_e64 s[0:1], 3, v18
	v_lshrrev_b32_e32 v9, 2, v9
	v_and_b32_e32 v19, 7, v14
	s_or_b64 vcc, s[0:1], vcc
	v_cmp_lt_i32_e64 s[2:3], 5, v19
	v_cmp_eq_u32_e64 s[4:5], 3, v19
	v_addc_co_u32_e32 v9, vcc, 0, v9, vcc
	v_lshrrev_b32_e32 v14, 2, v14
	s_or_b64 vcc, s[4:5], s[2:3]
	v_addc_co_u32_e32 v14, vcc, 0, v14, vcc
	v_cmp_gt_i32_e32 vcc, 31, v10
	v_cndmask_b32_e32 v9, v2, v9, vcc
	v_cmp_gt_i32_e32 vcc, 31, v15
	v_lshl_or_b32 v5, v5, 9, v2
	v_cndmask_b32_e32 v14, v2, v14, vcc
	v_cmp_eq_u32_e32 vcc, s14, v10
	v_lshrrev_b32_e32 v6, 16, v6
	v_lshl_or_b32 v7, v7, 9, v2
	v_cndmask_b32_e32 v5, v9, v5, vcc
	v_cmp_eq_u32_e32 vcc, s14, v15
	v_lshrrev_b32_e32 v8, 16, v8
	v_cndmask_b32_e32 v7, v14, v7, vcc
	v_and_or_b32 v5, v6, s15, v5
	v_and_or_b32 v6, v8, s15, v7
	v_and_b32_e32 v5, 0xffff, v5
	v_lshl_or_b32 v5, v6, 16, v5
	global_store_dword v[0:1], v5, off
	v_fma_f16 v5, v11, v12, -v13
	v_cvt_f32_f16_e32 v5, v5
	v_and_b32_e32 v20, 7, v16
	v_cmp_lt_i32_e32 vcc, 5, v20
	v_cmp_eq_u32_e64 s[0:1], 3, v20
	v_cvt_f64_f32_e32 v[5:6], v5
	v_lshrrev_b32_e32 v7, 2, v16
	s_or_b64 vcc, s[0:1], vcc
	v_addc_co_u32_e32 v7, vcc, 0, v7, vcc
	v_mul_f64 v[5:6], v[5:6], s[12:13]
	v_cmp_gt_i32_e32 vcc, 31, v17
	v_cndmask_b32_e32 v7, v2, v7, vcc
	v_cmp_ne_u32_e32 vcc, 0, v3
	v_cndmask_b32_e64 v3, 0, 1, vcc
	v_lshl_or_b32 v3, v3, 9, v2
	v_cmp_eq_u32_e32 vcc, s14, v17
	v_cndmask_b32_e32 v3, v7, v3, vcc
	v_lshrrev_b32_e32 v4, 16, v4
	v_and_or_b32 v3, v4, s15, v3
	v_and_or_b32 v4, v6, s10, v5
	v_cmp_ne_u32_e32 vcc, 0, v4
	v_cndmask_b32_e64 v4, 0, 1, vcc
	v_lshrrev_b32_e32 v5, 8, v6
	v_bfe_u32 v7, v6, 20, 11
	v_and_or_b32 v4, v5, s11, v4
	v_sub_u32_e32 v8, 0x3f1, v7
	v_or_b32_e32 v5, 0x1000, v4
	v_med3_i32 v8, v8, 0, 13
	v_lshrrev_b32_e32 v9, v8, v5
	v_lshlrev_b32_e32 v8, v8, v9
	v_cmp_ne_u32_e32 vcc, v8, v5
	v_cndmask_b32_e64 v5, 0, 1, vcc
	v_add_u32_e32 v7, 0xfffffc10, v7
	v_or_b32_e32 v5, v9, v5
	v_lshl_or_b32 v8, v7, 12, v4
	v_cmp_gt_i32_e32 vcc, 1, v7
	v_cndmask_b32_e32 v5, v8, v5, vcc
	v_and_b32_e32 v8, 7, v5
	v_cmp_lt_i32_e32 vcc, 5, v8
	v_cmp_eq_u32_e64 s[0:1], 3, v8
	v_lshrrev_b32_e32 v5, 2, v5
	s_or_b64 vcc, s[0:1], vcc
	v_addc_co_u32_e32 v5, vcc, 0, v5, vcc
	v_cmp_gt_i32_e32 vcc, 31, v7
	v_cndmask_b32_e32 v5, v2, v5, vcc
	v_cmp_ne_u32_e32 vcc, 0, v4
	v_cndmask_b32_e64 v4, 0, 1, vcc
	v_lshl_or_b32 v2, v4, 9, v2
	v_cmp_eq_u32_e32 vcc, s14, v7
	v_cndmask_b32_e32 v2, v5, v2, vcc
	v_lshrrev_b32_e32 v4, 16, v6
	v_and_or_b32 v2, v4, s15, v2
	v_and_b32_e32 v3, 0xffff, v3
	v_lshl_or_b32 v2, v2, 16, v3
	v_mov_b32_e32 v3, s7
	v_add_co_u32_e32 v0, vcc, s6, v0
	v_addc_co_u32_e32 v1, vcc, v1, v3, vcc
	global_store_dword v[0:1], v2, off
.LBB0_23:
	s_endpgm
	.section	.rodata,"a",@progbits
	.p2align	6, 0x0
	.amdhsa_kernel bluestein_single_fwd_len70_dim1_half_op_CI_CI
		.amdhsa_group_segment_fixed_size 5040
		.amdhsa_private_segment_fixed_size 0
		.amdhsa_kernarg_size 104
		.amdhsa_user_sgpr_count 6
		.amdhsa_user_sgpr_private_segment_buffer 1
		.amdhsa_user_sgpr_dispatch_ptr 0
		.amdhsa_user_sgpr_queue_ptr 0
		.amdhsa_user_sgpr_kernarg_segment_ptr 1
		.amdhsa_user_sgpr_dispatch_id 0
		.amdhsa_user_sgpr_flat_scratch_init 0
		.amdhsa_user_sgpr_private_segment_size 0
		.amdhsa_uses_dynamic_stack 0
		.amdhsa_system_sgpr_private_segment_wavefront_offset 0
		.amdhsa_system_sgpr_workgroup_id_x 1
		.amdhsa_system_sgpr_workgroup_id_y 0
		.amdhsa_system_sgpr_workgroup_id_z 0
		.amdhsa_system_sgpr_workgroup_info 0
		.amdhsa_system_vgpr_workitem_id 0
		.amdhsa_next_free_vgpr 51
		.amdhsa_next_free_sgpr 16
		.amdhsa_reserve_vcc 1
		.amdhsa_reserve_flat_scratch 0
		.amdhsa_float_round_mode_32 0
		.amdhsa_float_round_mode_16_64 0
		.amdhsa_float_denorm_mode_32 3
		.amdhsa_float_denorm_mode_16_64 3
		.amdhsa_dx10_clamp 1
		.amdhsa_ieee_mode 1
		.amdhsa_fp16_overflow 0
		.amdhsa_exception_fp_ieee_invalid_op 0
		.amdhsa_exception_fp_denorm_src 0
		.amdhsa_exception_fp_ieee_div_zero 0
		.amdhsa_exception_fp_ieee_overflow 0
		.amdhsa_exception_fp_ieee_underflow 0
		.amdhsa_exception_fp_ieee_inexact 0
		.amdhsa_exception_int_div_zero 0
	.end_amdhsa_kernel
	.text
.Lfunc_end0:
	.size	bluestein_single_fwd_len70_dim1_half_op_CI_CI, .Lfunc_end0-bluestein_single_fwd_len70_dim1_half_op_CI_CI
                                        ; -- End function
	.section	.AMDGPU.csdata,"",@progbits
; Kernel info:
; codeLenInByte = 8280
; NumSgprs: 20
; NumVgprs: 51
; ScratchSize: 0
; MemoryBound: 0
; FloatMode: 240
; IeeeMode: 1
; LDSByteSize: 5040 bytes/workgroup (compile time only)
; SGPRBlocks: 2
; VGPRBlocks: 12
; NumSGPRsForWavesPerEU: 20
; NumVGPRsForWavesPerEU: 51
; Occupancy: 4
; WaveLimiterHint : 1
; COMPUTE_PGM_RSRC2:SCRATCH_EN: 0
; COMPUTE_PGM_RSRC2:USER_SGPR: 6
; COMPUTE_PGM_RSRC2:TRAP_HANDLER: 0
; COMPUTE_PGM_RSRC2:TGID_X_EN: 1
; COMPUTE_PGM_RSRC2:TGID_Y_EN: 0
; COMPUTE_PGM_RSRC2:TGID_Z_EN: 0
; COMPUTE_PGM_RSRC2:TIDIG_COMP_CNT: 0
	.type	__hip_cuid_4a779d53dde3f6ef,@object ; @__hip_cuid_4a779d53dde3f6ef
	.section	.bss,"aw",@nobits
	.globl	__hip_cuid_4a779d53dde3f6ef
__hip_cuid_4a779d53dde3f6ef:
	.byte	0                               ; 0x0
	.size	__hip_cuid_4a779d53dde3f6ef, 1

	.ident	"AMD clang version 19.0.0git (https://github.com/RadeonOpenCompute/llvm-project roc-6.4.0 25133 c7fe45cf4b819c5991fe208aaa96edf142730f1d)"
	.section	".note.GNU-stack","",@progbits
	.addrsig
	.addrsig_sym __hip_cuid_4a779d53dde3f6ef
	.amdgpu_metadata
---
amdhsa.kernels:
  - .args:
      - .actual_access:  read_only
        .address_space:  global
        .offset:         0
        .size:           8
        .value_kind:     global_buffer
      - .actual_access:  read_only
        .address_space:  global
        .offset:         8
        .size:           8
        .value_kind:     global_buffer
      - .actual_access:  read_only
        .address_space:  global
        .offset:         16
        .size:           8
        .value_kind:     global_buffer
      - .actual_access:  read_only
        .address_space:  global
        .offset:         24
        .size:           8
        .value_kind:     global_buffer
      - .actual_access:  read_only
        .address_space:  global
        .offset:         32
        .size:           8
        .value_kind:     global_buffer
      - .offset:         40
        .size:           8
        .value_kind:     by_value
      - .address_space:  global
        .offset:         48
        .size:           8
        .value_kind:     global_buffer
      - .address_space:  global
        .offset:         56
        .size:           8
        .value_kind:     global_buffer
      - .address_space:  global
        .offset:         64
        .size:           8
        .value_kind:     global_buffer
      - .address_space:  global
        .offset:         72
        .size:           8
        .value_kind:     global_buffer
      - .offset:         80
        .size:           4
        .value_kind:     by_value
      - .address_space:  global
        .offset:         88
        .size:           8
        .value_kind:     global_buffer
      - .address_space:  global
        .offset:         96
        .size:           8
        .value_kind:     global_buffer
    .group_segment_fixed_size: 5040
    .kernarg_segment_align: 8
    .kernarg_segment_size: 104
    .language:       OpenCL C
    .language_version:
      - 2
      - 0
    .max_flat_workgroup_size: 252
    .name:           bluestein_single_fwd_len70_dim1_half_op_CI_CI
    .private_segment_fixed_size: 0
    .sgpr_count:     20
    .sgpr_spill_count: 0
    .symbol:         bluestein_single_fwd_len70_dim1_half_op_CI_CI.kd
    .uniform_work_group_size: 1
    .uses_dynamic_stack: false
    .vgpr_count:     51
    .vgpr_spill_count: 0
    .wavefront_size: 64
amdhsa.target:   amdgcn-amd-amdhsa--gfx906
amdhsa.version:
  - 1
  - 2
...

	.end_amdgpu_metadata
